;; amdgpu-corpus repo=ROCm/rocFFT kind=compiled arch=gfx950 opt=O3
	.text
	.amdgcn_target "amdgcn-amd-amdhsa--gfx950"
	.amdhsa_code_object_version 6
	.protected	bluestein_single_fwd_len60_dim1_dp_op_CI_CI ; -- Begin function bluestein_single_fwd_len60_dim1_dp_op_CI_CI
	.globl	bluestein_single_fwd_len60_dim1_dp_op_CI_CI
	.p2align	8
	.type	bluestein_single_fwd_len60_dim1_dp_op_CI_CI,@function
bluestein_single_fwd_len60_dim1_dp_op_CI_CI: ; @bluestein_single_fwd_len60_dim1_dp_op_CI_CI
; %bb.0:
	s_load_dwordx4 s[16:19], s[0:1], 0x28
	v_mul_u32_u24_e32 v1, 0x199a, v0
	v_lshrrev_b32_e32 v2, 16, v1
	v_mad_u64_u32 v[100:101], s[2:3], s2, 6, v[2:3]
	v_mov_b32_e32 v103, 0
	v_mov_b32_e32 v101, v103
	s_waitcnt lgkmcnt(0)
	v_cmp_gt_u64_e32 vcc, s[16:17], v[100:101]
	s_and_saveexec_b64 s[2:3], vcc
	s_cbranch_execz .LBB0_10
; %bb.1:
	s_load_dwordx4 s[8:11], s[0:1], 0x18
	s_load_dwordx4 s[4:7], s[0:1], 0x0
	v_mul_lo_u16_e32 v1, 10, v2
	v_sub_u16_e32 v101, v0, v1
	v_mov_b32_e32 v4, s18
	s_waitcnt lgkmcnt(0)
	s_load_dwordx4 s[12:15], s[8:9], 0x0
	v_mov_b32_e32 v5, s19
	v_mov_b32_e32 v14, 0xa0
	v_lshlrev_b32_e32 v102, 4, v101
	global_load_dwordx4 v[20:23], v102, s[4:5]
	s_waitcnt lgkmcnt(0)
	v_mad_u64_u32 v[0:1], s[2:3], s14, v100, 0
	v_mov_b32_e32 v2, v1
	v_mad_u64_u32 v[2:3], s[2:3], s15, v100, v[2:3]
	v_mov_b32_e32 v1, v2
	;; [unrolled: 2-line block ×4, first 2 shown]
	v_lshl_add_u64 v[0:1], v[0:1], 4, v[4:5]
	v_lshl_add_u64 v[0:1], v[2:3], 4, v[0:1]
	global_load_dwordx4 v[24:27], v[0:1], off
	v_mad_u64_u32 v[0:1], s[2:3], s12, v14, v[0:1]
	s_mul_i32 s8, s13, 0xa0
	v_add_u32_e32 v1, s8, v1
	global_load_dwordx4 v[16:19], v102, s[4:5] offset:160
	global_load_dwordx4 v[28:31], v[0:1], off
	v_mad_u64_u32 v[4:5], s[2:3], s12, v14, v[0:1]
	v_add_u32_e32 v5, s8, v5
	global_load_dwordx4 v[32:35], v[4:5], off
	global_load_dwordx4 v[0:3], v102, s[4:5] offset:320
	v_mad_u64_u32 v[8:9], s[2:3], s12, v14, v[4:5]
	v_add_u32_e32 v9, s8, v9
	global_load_dwordx4 v[4:7], v102, s[4:5] offset:480
	global_load_dwordx4 v[36:39], v[8:9], off
	v_mad_u64_u32 v[12:13], s[2:3], s12, v14, v[8:9]
	v_add_u32_e32 v13, s8, v13
	global_load_dwordx4 v[40:43], v[12:13], off
	global_load_dwordx4 v[8:11], v102, s[4:5] offset:640
	v_mad_u64_u32 v[48:49], s[2:3], s12, v14, v[12:13]
	v_add_u32_e32 v49, s8, v49
	global_load_dwordx4 v[12:15], v102, s[4:5] offset:800
	global_load_dwordx4 v[44:47], v[48:49], off
	s_load_dwordx2 s[8:9], s[0:1], 0x38
	s_mov_b32 s0, 0xaaaaaaab
	v_mul_hi_u32 v48, v100, s0
	v_lshrrev_b32_e32 v48, 2, v48
	v_mul_lo_u32 v48, v48, 6
	v_sub_u32_e32 v48, v100, v48
	v_mul_u32_u24_e32 v48, 60, v48
	v_lshlrev_b32_e32 v156, 4, v48
	v_add_u32_e32 v154, v102, v156
	s_load_dwordx4 s[0:3], s[10:11], 0x0
	s_mov_b32 s14, 0xe8584caa
	s_mov_b32 s15, 0x3febb67a
	;; [unrolled: 1-line block ×4, first 2 shown]
	v_cmp_gt_u16_e32 vcc, 6, v101
                                        ; implicit-def: $vgpr84_vgpr85
                                        ; implicit-def: $vgpr88_vgpr89
                                        ; implicit-def: $vgpr92_vgpr93
                                        ; implicit-def: $vgpr96_vgpr97
	s_waitcnt vmcnt(10)
	v_mul_f64 v[48:49], v[26:27], v[22:23]
	v_mul_f64 v[50:51], v[24:25], v[22:23]
	v_fmac_f64_e32 v[48:49], v[24:25], v[20:21]
	v_fma_f64 v[50:51], v[26:27], v[20:21], -v[50:51]
	ds_write_b128 v154, v[48:51]
	s_waitcnt vmcnt(8)
	v_mul_f64 v[24:25], v[30:31], v[18:19]
	v_mul_f64 v[26:27], v[28:29], v[18:19]
	v_fmac_f64_e32 v[24:25], v[28:29], v[16:17]
	v_fma_f64 v[26:27], v[30:31], v[16:17], -v[26:27]
	ds_write_b128 v154, v[24:27] offset:160
	s_waitcnt vmcnt(6)
	v_mul_f64 v[24:25], v[34:35], v[2:3]
	v_mul_f64 v[26:27], v[32:33], v[2:3]
	v_fmac_f64_e32 v[24:25], v[32:33], v[0:1]
	v_fma_f64 v[26:27], v[34:35], v[0:1], -v[26:27]
	ds_write_b128 v154, v[24:27] offset:320
	;; [unrolled: 6-line block ×5, first 2 shown]
	s_waitcnt lgkmcnt(0)
	; wave barrier
	s_waitcnt lgkmcnt(0)
	ds_read_b128 v[24:27], v154 offset:320
	ds_read_b128 v[28:31], v154
	ds_read_b128 v[32:35], v154 offset:640
	ds_read_b128 v[36:39], v154 offset:160
	;; [unrolled: 1-line block ×4, first 2 shown]
	s_waitcnt lgkmcnt(4)
	v_add_f64 v[54:55], v[30:31], v[26:27]
	s_waitcnt lgkmcnt(3)
	v_add_f64 v[50:51], v[24:25], v[32:33]
	v_add_f64 v[52:53], v[26:27], -v[34:35]
	v_add_f64 v[26:27], v[26:27], v[34:35]
	v_add_f64 v[48:49], v[28:29], v[24:25]
	v_add_f64 v[24:25], v[24:25], -v[32:33]
	v_fmac_f64_e32 v[28:29], -0.5, v[50:51]
	v_fmac_f64_e32 v[30:31], -0.5, v[26:27]
	s_waitcnt lgkmcnt(0)
	v_add_f64 v[50:51], v[40:41], v[44:45]
	v_add_f64 v[32:33], v[48:49], v[32:33]
	v_fma_f64 v[48:49], s[12:13], v[24:25], v[30:31]
	v_fmac_f64_e32 v[30:31], s[14:15], v[24:25]
	v_add_f64 v[24:25], v[36:37], v[40:41]
	v_fmac_f64_e32 v[36:37], -0.5, v[50:51]
	v_add_f64 v[50:51], v[42:43], -v[46:47]
	v_fma_f64 v[26:27], s[14:15], v[52:53], v[28:29]
	v_fmac_f64_e32 v[28:29], s[12:13], v[52:53]
	v_fma_f64 v[52:53], s[14:15], v[50:51], v[36:37]
	v_fmac_f64_e32 v[36:37], s[12:13], v[50:51]
	v_add_f64 v[50:51], v[38:39], v[42:43]
	v_add_f64 v[42:43], v[42:43], v[46:47]
	v_fmac_f64_e32 v[38:39], -0.5, v[42:43]
	v_add_f64 v[40:41], v[40:41], -v[44:45]
	v_add_f64 v[24:25], v[24:25], v[44:45]
	v_fma_f64 v[42:43], s[12:13], v[40:41], v[38:39]
	v_fmac_f64_e32 v[38:39], s[14:15], v[40:41]
	v_mul_f64 v[44:45], v[36:37], -0.5
	v_add_f64 v[50:51], v[50:51], v[46:47]
	v_mul_f64 v[40:41], v[42:43], s[14:15]
	v_fmac_f64_e32 v[44:45], s[14:15], v[38:39]
	v_mul_f64 v[46:47], v[52:53], s[12:13]
	v_mul_f64 v[38:39], v[38:39], -0.5
	v_add_f64 v[34:35], v[54:55], v[34:35]
	v_add_f64 v[64:65], v[32:33], v[24:25]
	v_fmac_f64_e32 v[40:41], 0.5, v[52:53]
	v_fmac_f64_e32 v[46:47], 0.5, v[42:43]
	v_fmac_f64_e32 v[38:39], s[12:13], v[36:37]
	v_add_f64 v[72:73], v[32:33], -v[24:25]
	v_mul_lo_u16_e32 v24, 6, v101
	v_add_f64 v[60:61], v[26:27], v[40:41]
	v_add_f64 v[68:69], v[28:29], v[44:45]
	v_add_f64 v[66:67], v[34:35], v[50:51]
	v_add_f64 v[62:63], v[48:49], v[46:47]
	v_add_f64 v[70:71], v[30:31], v[38:39]
	v_add_f64 v[76:77], v[26:27], -v[40:41]
	v_add_f64 v[74:75], v[34:35], -v[50:51]
	;; [unrolled: 1-line block ×5, first 2 shown]
	v_lshl_add_u32 v155, v24, 4, v156
	s_waitcnt lgkmcnt(0)
	; wave barrier
	ds_write_b128 v155, v[64:67]
	ds_write_b128 v155, v[60:63] offset:16
	ds_write_b128 v155, v[68:71] offset:32
	;; [unrolled: 1-line block ×5, first 2 shown]
	s_waitcnt lgkmcnt(0)
	; wave barrier
	s_waitcnt lgkmcnt(0)
	s_and_saveexec_b64 s[10:11], vcc
	s_cbranch_execz .LBB0_3
; %bb.2:
	ds_read_b128 v[64:67], v154
	ds_read_b128 v[60:63], v154 offset:96
	ds_read_b128 v[68:71], v154 offset:192
	ds_read_b128 v[72:75], v154 offset:288
	ds_read_b128 v[76:79], v154 offset:384
	ds_read_b128 v[80:83], v154 offset:480
	ds_read_b128 v[84:87], v154 offset:576
	ds_read_b128 v[88:91], v154 offset:672
	ds_read_b128 v[92:95], v154 offset:768
	ds_read_b128 v[96:99], v154 offset:864
.LBB0_3:
	s_or_b64 exec, exec, s[10:11]
	v_add_u32_e32 v24, -6, v101
	v_cndmask_b32_e32 v24, v24, v101, vcc
	v_mul_hi_i32_i24_e32 v25, 0x90, v24
	v_mul_i32_i24_e32 v24, 0x90, v24
	v_lshl_add_u64 v[104:105], s[6:7], 0, v[24:25]
	global_load_dwordx4 v[24:27], v[104:105], off
	global_load_dwordx4 v[36:39], v[104:105], off offset:16
	global_load_dwordx4 v[28:31], v[104:105], off offset:32
	;; [unrolled: 1-line block ×8, first 2 shown]
	s_mov_b32 s12, 0x134454ff
	s_mov_b32 s13, 0x3fee6f0e
	;; [unrolled: 1-line block ×12, first 2 shown]
	s_waitcnt vmcnt(8) lgkmcnt(8)
	v_mul_f64 v[108:109], v[62:63], v[26:27]
	s_waitcnt vmcnt(7) lgkmcnt(7)
	v_mul_f64 v[116:117], v[70:71], v[38:39]
	;; [unrolled: 2-line block ×4, first 2 shown]
	v_mul_f64 v[110:111], v[68:69], v[38:39]
	s_waitcnt vmcnt(3) lgkmcnt(3)
	v_mul_f64 v[134:135], v[86:87], v[54:55]
	v_mul_f64 v[114:115], v[76:77], v[34:35]
	;; [unrolled: 1-line block ×3, first 2 shown]
	s_waitcnt vmcnt(1) lgkmcnt(1)
	v_mul_f64 v[128:129], v[92:93], v[58:59]
	v_fma_f64 v[120:121], v[68:69], v[36:37], -v[116:117]
	v_fma_f64 v[116:117], v[72:73], v[28:29], -v[126:127]
	;; [unrolled: 1-line block ×4, first 2 shown]
	v_mul_f64 v[132:133], v[82:83], v[42:43]
	v_mul_f64 v[118:119], v[88:89], v[46:47]
	;; [unrolled: 1-line block ×3, first 2 shown]
	v_fmac_f64_e32 v[110:111], v[70:71], v[36:37]
	v_fmac_f64_e32 v[114:115], v[78:79], v[32:33]
	;; [unrolled: 1-line block ×4, first 2 shown]
	v_add_f64 v[76:77], v[126:127], v[130:131]
	v_mul_f64 v[104:105], v[60:61], v[26:27]
	v_mul_f64 v[112:113], v[80:81], v[42:43]
	;; [unrolled: 1-line block ×3, first 2 shown]
	s_waitcnt vmcnt(0) lgkmcnt(0)
	v_mul_f64 v[124:125], v[96:97], v[50:51]
	v_fma_f64 v[80:81], v[80:81], v[40:41], -v[132:133]
	v_fmac_f64_e32 v[118:119], v[90:91], v[44:45]
	v_fma_f64 v[90:91], v[92:93], v[56:57], -v[138:139]
	v_add_f64 v[132:133], v[110:111], -v[128:129]
	v_add_f64 v[84:85], v[114:115], v[122:123]
	v_fma_f64 v[94:95], -0.5, v[76:77], v[64:65]
	v_mul_f64 v[140:141], v[98:99], v[50:51]
	v_fma_f64 v[108:109], v[60:61], v[24:25], -v[108:109]
	v_fmac_f64_e32 v[104:105], v[62:63], v[24:25]
	v_fmac_f64_e32 v[124:125], v[98:99], v[48:49]
	v_add_f64 v[60:61], v[120:121], -v[126:127]
	v_add_f64 v[62:63], v[90:91], -v[130:131]
	v_add_f64 v[78:79], v[120:121], v[90:91]
	v_add_f64 v[134:135], v[114:115], -v[122:123]
	v_fma_f64 v[98:99], -0.5, v[84:85], v[66:67]
	v_fma_f64 v[84:85], s[12:13], v[132:133], v[94:95]
	v_fmac_f64_e32 v[94:95], s[14:15], v[132:133]
	v_mul_f64 v[106:107], v[72:73], v[30:31]
	v_fmac_f64_e32 v[112:113], v[82:83], v[40:41]
	v_fma_f64 v[82:83], v[88:89], v[44:45], -v[136:137]
	v_add_f64 v[136:137], v[120:121], -v[90:91]
	v_add_f64 v[60:61], v[60:61], v[62:63]
	v_fma_f64 v[88:89], -0.5, v[78:79], v[64:65]
	v_fmac_f64_e32 v[84:85], s[6:7], v[134:135]
	v_fmac_f64_e32 v[94:95], s[10:11], v[134:135]
	;; [unrolled: 1-line block ×3, first 2 shown]
	v_fma_f64 v[86:87], v[96:97], v[48:49], -v[140:141]
	v_add_f64 v[68:69], v[126:127], -v[120:121]
	v_add_f64 v[70:71], v[130:131], -v[90:91]
	;; [unrolled: 1-line block ×4, first 2 shown]
	v_fma_f64 v[92:93], s[14:15], v[134:135], v[88:89]
	v_fmac_f64_e32 v[88:89], s[12:13], v[134:135]
	v_fma_f64 v[96:97], s[14:15], v[136:137], v[98:99]
	v_fmac_f64_e32 v[84:85], s[16:17], v[60:61]
	v_fmac_f64_e32 v[94:95], s[16:17], v[60:61]
	v_add_f64 v[60:61], v[126:127], -v[130:131]
	v_fmac_f64_e32 v[98:99], s[12:13], v[136:137]
	v_add_f64 v[62:63], v[68:69], v[70:71]
	v_add_f64 v[68:69], v[72:73], v[74:75]
	v_fmac_f64_e32 v[92:93], s[6:7], v[132:133]
	v_fmac_f64_e32 v[88:89], s[10:11], v[132:133]
	;; [unrolled: 1-line block ×8, first 2 shown]
	v_add_f64 v[62:63], v[114:115], -v[110:111]
	v_add_f64 v[68:69], v[122:123], -v[128:129]
	v_add_f64 v[62:63], v[62:63], v[68:69]
	v_add_f64 v[68:69], v[110:111], v[128:129]
	v_fma_f64 v[134:135], -0.5, v[68:69], v[66:67]
	v_fma_f64 v[132:133], s[12:13], v[60:61], v[134:135]
	v_fmac_f64_e32 v[134:135], s[14:15], v[60:61]
	v_fmac_f64_e32 v[132:133], s[10:11], v[136:137]
	;; [unrolled: 1-line block ×5, first 2 shown]
	v_add_f64 v[60:61], v[116:117], -v[80:81]
	v_add_f64 v[62:63], v[86:87], -v[82:83]
	v_add_f64 v[60:61], v[60:61], v[62:63]
	v_add_f64 v[62:63], v[80:81], v[82:83]
	v_fma_f64 v[62:63], -0.5, v[62:63], v[108:109]
	v_add_f64 v[68:69], v[106:107], -v[124:125]
	v_fma_f64 v[70:71], s[12:13], v[68:69], v[62:63]
	v_add_f64 v[72:73], v[112:113], -v[118:119]
	v_fmac_f64_e32 v[62:63], s[14:15], v[68:69]
	v_fmac_f64_e32 v[70:71], s[6:7], v[72:73]
	v_fmac_f64_e32 v[62:63], s[10:11], v[72:73]
	v_fmac_f64_e32 v[70:71], s[16:17], v[60:61]
	v_fmac_f64_e32 v[62:63], s[16:17], v[60:61]
	v_add_f64 v[60:61], v[80:81], -v[116:117]
	v_add_f64 v[74:75], v[82:83], -v[86:87]
	v_add_f64 v[60:61], v[60:61], v[74:75]
	v_add_f64 v[74:75], v[116:117], v[86:87]
	v_fma_f64 v[74:75], -0.5, v[74:75], v[108:109]
	v_fma_f64 v[76:77], s[14:15], v[72:73], v[74:75]
	v_fmac_f64_e32 v[74:75], s[12:13], v[72:73]
	v_fmac_f64_e32 v[76:77], s[6:7], v[68:69]
	v_fmac_f64_e32 v[74:75], s[10:11], v[68:69]
	v_fmac_f64_e32 v[76:77], s[16:17], v[60:61]
	v_fmac_f64_e32 v[74:75], s[16:17], v[60:61]
	v_add_f64 v[60:61], v[106:107], -v[112:113]
	v_add_f64 v[68:69], v[124:125], -v[118:119]
	v_add_f64 v[60:61], v[60:61], v[68:69]
	v_add_f64 v[68:69], v[112:113], v[118:119]
	v_fma_f64 v[68:69], -0.5, v[68:69], v[104:105]
	v_add_f64 v[72:73], v[116:117], -v[86:87]
	v_fma_f64 v[78:79], s[14:15], v[72:73], v[68:69]
	v_add_f64 v[136:137], v[80:81], -v[82:83]
	v_fmac_f64_e32 v[68:69], s[12:13], v[72:73]
	v_fmac_f64_e32 v[78:79], s[10:11], v[136:137]
	;; [unrolled: 1-line block ×5, first 2 shown]
	v_add_f64 v[60:61], v[112:113], -v[106:107]
	v_add_f64 v[138:139], v[118:119], -v[124:125]
	v_add_f64 v[60:61], v[60:61], v[138:139]
	v_add_f64 v[138:139], v[106:107], v[124:125]
	v_fma_f64 v[146:147], -0.5, v[138:139], v[104:105]
	v_fma_f64 v[142:143], s[12:13], v[136:137], v[146:147]
	v_fmac_f64_e32 v[146:147], s[14:15], v[136:137]
	v_fmac_f64_e32 v[142:143], s[10:11], v[72:73]
	v_fmac_f64_e32 v[146:147], s[6:7], v[72:73]
	v_fmac_f64_e32 v[142:143], s[16:17], v[60:61]
	v_fmac_f64_e32 v[146:147], s[16:17], v[60:61]
	v_mul_f64 v[148:149], v[76:77], s[14:15]
	v_mul_f64 v[60:61], v[74:75], s[16:17]
	;; [unrolled: 1-line block ×3, first 2 shown]
	v_fmac_f64_e32 v[148:149], s[16:17], v[142:143]
	v_fma_f64 v[142:143], v[146:147], s[12:13], -v[60:61]
	v_mul_f64 v[60:61], v[146:147], s[16:17]
	v_fma_f64 v[150:151], v[74:75], s[14:15], -v[60:61]
	v_mul_f64 v[60:61], v[62:63], s[18:19]
	v_mul_f64 v[138:139], v[78:79], s[6:7]
	v_mul_f64 v[144:145], v[70:71], s[10:11]
	v_fma_f64 v[146:147], v[68:69], s[6:7], -v[60:61]
	v_mul_f64 v[60:61], v[68:69], s[18:19]
	v_fmac_f64_e32 v[138:139], s[18:19], v[70:71]
	v_fmac_f64_e32 v[144:145], s[18:19], v[78:79]
	;; [unrolled: 1-line block ×3, first 2 shown]
	v_fma_f64 v[152:153], v[62:63], s[10:11], -v[60:61]
	v_add_f64 v[68:69], v[84:85], -v[138:139]
	v_add_f64 v[70:71], v[96:97], -v[144:145]
	;; [unrolled: 1-line block ×8, first 2 shown]
	v_lshl_add_u64 v[136:137], s[4:5], 0, v[102:103]
	s_and_saveexec_b64 s[6:7], vcc
	s_cbranch_execz .LBB0_5
; %bb.4:
	v_add_f64 v[66:67], v[66:67], v[110:111]
	v_add_f64 v[66:67], v[66:67], v[114:115]
	;; [unrolled: 1-line block ×16, first 2 shown]
	v_add_f64 v[66:67], v[110:111], -v[104:105]
	v_add_f64 v[86:87], v[96:97], v[144:145]
	v_add_f64 v[106:107], v[110:111], v[104:105]
	;; [unrolled: 1-line block ×5, first 2 shown]
	v_lshl_add_u32 v92, v101, 4, v156
	v_add_f64 v[64:65], v[112:113], -v[108:109]
	v_add_f64 v[82:83], v[98:99], v[152:153]
	v_add_f64 v[90:91], v[134:135], v[150:151]
	;; [unrolled: 1-line block ×5, first 2 shown]
	ds_write_b128 v154, v[104:107]
	ds_write_b128 v92, v[84:87] offset:96
	ds_write_b128 v92, v[96:99] offset:192
	;; [unrolled: 1-line block ×9, first 2 shown]
.LBB0_5:
	s_or_b64 exec, exec, s[6:7]
	s_waitcnt lgkmcnt(0)
	; wave barrier
	s_waitcnt lgkmcnt(0)
	global_load_dwordx4 v[64:67], v[136:137], off offset:960
	s_add_u32 s4, s4, 0x3c0
	s_addc_u32 s5, s5, 0
	global_load_dwordx4 v[80:83], v102, s[4:5] offset:160
	global_load_dwordx4 v[84:87], v102, s[4:5] offset:320
	;; [unrolled: 1-line block ×5, first 2 shown]
	ds_read_b128 v[106:109], v154
	ds_read_b128 v[110:113], v154 offset:160
	ds_read_b128 v[114:117], v154 offset:320
	ds_read_b128 v[118:121], v154 offset:640
	v_lshl_add_u32 v104, v101, 4, v156
	s_mov_b32 s6, 0xe8584caa
	s_mov_b32 s7, 0xbfebb67a
	;; [unrolled: 1-line block ×4, first 2 shown]
	s_waitcnt vmcnt(5) lgkmcnt(3)
	v_mul_f64 v[102:103], v[108:109], v[66:67]
	v_mul_f64 v[124:125], v[106:107], v[66:67]
	v_fma_f64 v[122:123], v[106:107], v[64:65], -v[102:103]
	v_fmac_f64_e32 v[124:125], v[108:109], v[64:65]
	ds_write_b128 v154, v[122:125]
	s_waitcnt vmcnt(4) lgkmcnt(3)
	v_mul_f64 v[64:65], v[112:113], v[82:83]
	v_mul_f64 v[66:67], v[110:111], v[82:83]
	s_waitcnt vmcnt(3) lgkmcnt(2)
	v_mul_f64 v[102:103], v[116:117], v[86:87]
	v_mul_f64 v[82:83], v[114:115], v[86:87]
	;; [unrolled: 3-line block ×3, first 2 shown]
	v_fma_f64 v[64:65], v[110:111], v[80:81], -v[64:65]
	v_fmac_f64_e32 v[66:67], v[112:113], v[80:81]
	v_fma_f64 v[80:81], v[114:115], v[84:85], -v[102:103]
	v_fmac_f64_e32 v[82:83], v[116:117], v[84:85]
	;; [unrolled: 2-line block ×3, first 2 shown]
	ds_read_b128 v[88:91], v104 offset:480
	ds_read_b128 v[106:109], v154 offset:800
	ds_write_b128 v154, v[64:67] offset:160
	ds_write_b128 v154, v[80:83] offset:320
	;; [unrolled: 1-line block ×3, first 2 shown]
	s_waitcnt vmcnt(1) lgkmcnt(4)
	v_mul_f64 v[64:65], v[90:91], v[94:95]
	v_mul_f64 v[66:67], v[88:89], v[94:95]
	s_waitcnt vmcnt(0) lgkmcnt(3)
	v_mul_f64 v[80:81], v[108:109], v[98:99]
	v_mul_f64 v[82:83], v[106:107], v[98:99]
	v_fma_f64 v[64:65], v[88:89], v[92:93], -v[64:65]
	v_fmac_f64_e32 v[66:67], v[90:91], v[92:93]
	v_fma_f64 v[80:81], v[106:107], v[96:97], -v[80:81]
	v_fmac_f64_e32 v[82:83], v[108:109], v[96:97]
	ds_write_b128 v104, v[64:67] offset:480
	ds_write_b128 v154, v[80:83] offset:800
	s_waitcnt lgkmcnt(0)
	; wave barrier
	s_waitcnt lgkmcnt(0)
	ds_read_b128 v[92:95], v154
	ds_read_b128 v[64:67], v154 offset:320
	ds_read_b128 v[80:83], v154 offset:640
	;; [unrolled: 1-line block ×5, first 2 shown]
	s_waitcnt lgkmcnt(4)
	v_add_f64 v[110:111], v[94:95], v[66:67]
	s_waitcnt lgkmcnt(3)
	v_add_f64 v[106:107], v[64:65], v[80:81]
	v_add_f64 v[102:103], v[92:93], v[64:65]
	s_waitcnt lgkmcnt(1)
	v_add_f64 v[118:119], v[86:87], v[90:91]
	s_waitcnt lgkmcnt(0)
	v_add_f64 v[116:117], v[90:91], -v[98:99]
	v_add_f64 v[90:91], v[90:91], v[98:99]
	v_add_f64 v[112:113], v[84:85], v[88:89]
	;; [unrolled: 1-line block ×3, first 2 shown]
	v_add_f64 v[88:89], v[88:89], -v[96:97]
	v_fmac_f64_e32 v[86:87], -0.5, v[90:91]
	v_add_f64 v[108:109], v[66:67], -v[82:83]
	v_add_f64 v[66:67], v[66:67], v[82:83]
	v_fmac_f64_e32 v[92:93], -0.5, v[106:107]
	v_add_f64 v[106:107], v[110:111], v[82:83]
	v_fmac_f64_e32 v[84:85], -0.5, v[114:115]
	v_fma_f64 v[82:83], s[4:5], v[88:89], v[86:87]
	v_fmac_f64_e32 v[86:87], s[6:7], v[88:89]
	v_add_f64 v[64:65], v[64:65], -v[80:81]
	v_add_f64 v[102:103], v[102:103], v[80:81]
	v_fmac_f64_e32 v[94:95], -0.5, v[66:67]
	v_add_f64 v[96:97], v[112:113], v[96:97]
	v_add_f64 v[98:99], v[118:119], v[98:99]
	v_fma_f64 v[80:81], s[6:7], v[116:117], v[84:85]
	v_fmac_f64_e32 v[84:85], s[4:5], v[116:117]
	v_mul_f64 v[112:113], v[82:83], s[6:7]
	v_mul_f64 v[114:115], v[86:87], s[6:7]
	v_mul_f64 v[116:117], v[82:83], 0.5
	v_mul_f64 v[118:119], v[86:87], -0.5
	v_fma_f64 v[110:111], s[6:7], v[108:109], v[92:93]
	v_fmac_f64_e32 v[92:93], s[4:5], v[108:109]
	v_fma_f64 v[108:109], s[4:5], v[64:65], v[94:95]
	v_fmac_f64_e32 v[94:95], s[6:7], v[64:65]
	v_fmac_f64_e32 v[112:113], 0.5, v[80:81]
	v_fmac_f64_e32 v[114:115], -0.5, v[84:85]
	v_fmac_f64_e32 v[116:117], s[4:5], v[80:81]
	v_fmac_f64_e32 v[118:119], s[4:5], v[84:85]
	v_add_f64 v[64:65], v[102:103], v[96:97]
	v_add_f64 v[66:67], v[106:107], v[98:99]
	;; [unrolled: 1-line block ×6, first 2 shown]
	v_add_f64 v[84:85], v[102:103], -v[96:97]
	v_add_f64 v[96:97], v[110:111], -v[112:113]
	;; [unrolled: 1-line block ×6, first 2 shown]
	s_waitcnt lgkmcnt(0)
	; wave barrier
	ds_write_b128 v155, v[64:67]
	ds_write_b128 v155, v[80:83] offset:16
	ds_write_b128 v155, v[88:91] offset:32
	;; [unrolled: 1-line block ×5, first 2 shown]
	s_waitcnt lgkmcnt(0)
	; wave barrier
	s_waitcnt lgkmcnt(0)
	s_and_saveexec_b64 s[4:5], vcc
	s_cbranch_execz .LBB0_7
; %bb.6:
	ds_read_b128 v[64:67], v154
	ds_read_b128 v[80:83], v154 offset:96
	ds_read_b128 v[88:91], v154 offset:192
	;; [unrolled: 1-line block ×9, first 2 shown]
.LBB0_7:
	s_or_b64 exec, exec, s[4:5]
	s_and_saveexec_b64 s[4:5], vcc
	s_cbranch_execz .LBB0_9
; %bb.8:
	s_waitcnt lgkmcnt(4)
	v_mul_f64 v[112:113], v[54:55], v[68:69]
	v_mul_f64 v[54:55], v[54:55], v[70:71]
	;; [unrolled: 1-line block ×3, first 2 shown]
	s_waitcnt lgkmcnt(2)
	v_mul_f64 v[110:111], v[58:59], v[76:77]
	v_fma_f64 v[112:113], v[52:53], v[70:71], -v[112:113]
	v_mul_f64 v[38:39], v[38:39], v[90:91]
	v_fmac_f64_e32 v[54:55], v[52:53], v[68:69]
	v_mul_f64 v[52:53], v[30:31], v[86:87]
	v_mul_f64 v[30:31], v[30:31], v[84:85]
	v_fma_f64 v[106:107], v[36:37], v[90:91], -v[102:103]
	v_fma_f64 v[110:111], v[56:57], v[78:79], -v[110:111]
	v_fmac_f64_e32 v[38:39], v[36:37], v[88:89]
	v_mul_f64 v[36:37], v[58:59], v[78:79]
	v_fmac_f64_e32 v[52:53], v[28:29], v[84:85]
	s_waitcnt lgkmcnt(1)
	v_mul_f64 v[68:69], v[42:43], v[94:95]
	s_waitcnt lgkmcnt(0)
	v_mul_f64 v[70:71], v[50:51], v[74:75]
	v_mul_f64 v[78:79], v[46:47], v[62:63]
	v_fma_f64 v[28:29], v[28:29], v[86:87], -v[30:31]
	v_mul_f64 v[30:31], v[50:51], v[72:73]
	v_fmac_f64_e32 v[68:69], v[40:41], v[92:93]
	v_fmac_f64_e32 v[70:71], v[48:49], v[72:73]
	;; [unrolled: 1-line block ×3, first 2 shown]
	v_fma_f64 v[48:49], v[48:49], v[74:75], -v[30:31]
	v_mul_f64 v[30:31], v[42:43], v[92:93]
	v_mul_f64 v[102:103], v[34:35], v[96:97]
	v_fmac_f64_e32 v[36:37], v[56:57], v[76:77]
	v_mul_f64 v[76:77], v[34:35], v[98:99]
	v_add_f64 v[34:35], v[52:53], -v[68:69]
	v_add_f64 v[88:89], v[70:71], -v[78:79]
	v_mul_f64 v[90:91], v[26:27], v[82:83]
	v_fma_f64 v[40:41], v[40:41], v[94:95], -v[30:31]
	v_mul_f64 v[30:31], v[46:47], v[60:61]
	v_add_f64 v[88:89], v[34:35], v[88:89]
	v_fmac_f64_e32 v[90:91], v[24:25], v[80:81]
	v_add_f64 v[34:35], v[68:69], v[78:79]
	v_fma_f64 v[44:45], v[44:45], v[62:63], -v[30:31]
	v_fma_f64 v[108:109], v[32:33], v[98:99], -v[102:103]
	v_fmac_f64_e32 v[76:77], v[32:33], v[96:97]
	v_fma_f64 v[96:97], -0.5, v[34:35], v[90:91]
	v_add_f64 v[30:31], v[28:29], -v[40:41]
	v_add_f64 v[34:35], v[48:49], -v[44:45]
	v_add_f64 v[46:47], v[30:31], v[34:35]
	v_add_f64 v[30:31], v[108:109], -v[106:107]
	v_add_f64 v[34:35], v[112:113], -v[110:111]
	v_add_f64 v[34:35], v[30:31], v[34:35]
	v_add_f64 v[30:31], v[106:107], v[110:111]
	v_fma_f64 v[84:85], -0.5, v[30:31], v[66:67]
	v_add_f64 v[30:31], v[68:69], -v[52:53]
	v_add_f64 v[92:93], v[78:79], -v[70:71]
	;; [unrolled: 1-line block ×4, first 2 shown]
	v_add_f64 v[92:93], v[30:31], v[92:93]
	v_add_f64 v[30:31], v[52:53], v[70:71]
	;; [unrolled: 1-line block ×4, first 2 shown]
	s_mov_b32 s6, 0x134454ff
	v_mul_f64 v[26:27], v[26:27], v[80:81]
	v_fma_f64 v[94:95], -0.5, v[30:31], v[90:91]
	v_add_f64 v[30:31], v[40:41], -v[28:29]
	v_add_f64 v[116:117], v[44:45], -v[48:49]
	v_fma_f64 v[102:103], -0.5, v[102:103], v[66:67]
	v_add_f64 v[58:59], v[38:39], -v[36:37]
	s_mov_b32 s7, 0xbfee6f0e
	s_mov_b32 s10, 0x4755a5e
	;; [unrolled: 1-line block ×4, first 2 shown]
	v_fma_f64 v[24:25], v[24:25], v[82:83], -v[26:27]
	v_add_f64 v[26:27], v[40:41], v[44:45]
	v_add_f64 v[116:117], v[30:31], v[116:117]
	;; [unrolled: 1-line block ×3, first 2 shown]
	v_fma_f64 v[56:57], s[6:7], v[58:59], v[102:103]
	v_add_f64 v[32:33], v[76:77], -v[54:55]
	s_mov_b32 s11, 0xbfe2cf23
	s_mov_b32 s17, 0x3fe2cf23
	;; [unrolled: 1-line block ×3, first 2 shown]
	v_fma_f64 v[60:61], -0.5, v[26:27], v[24:25]
	v_fma_f64 v[118:119], -0.5, v[30:31], v[24:25]
	v_fmac_f64_e32 v[102:103], s[14:15], v[58:59]
	v_add_f64 v[24:25], v[24:25], v[28:29]
	v_fmac_f64_e32 v[56:57], s[10:11], v[32:33]
	v_fma_f64 v[86:87], s[14:15], v[32:33], v[84:85]
	v_fmac_f64_e32 v[84:85], s[6:7], v[32:33]
	v_fmac_f64_e32 v[102:103], s[16:17], v[32:33]
	v_add_f64 v[32:33], v[66:67], v[106:107]
	v_add_f64 v[24:25], v[24:25], v[40:41]
	v_add_f64 v[80:81], v[68:69], -v[78:79]
	v_add_f64 v[32:33], v[32:33], v[108:109]
	v_add_f64 v[24:25], v[24:25], v[44:45]
	v_add_f64 v[50:51], v[28:29], -v[48:49]
	v_add_f64 v[62:63], v[52:53], -v[70:71]
	v_fma_f64 v[120:121], s[14:15], v[80:81], v[118:119]
	v_fmac_f64_e32 v[118:119], s[6:7], v[80:81]
	v_add_f64 v[32:33], v[32:33], v[112:113]
	v_add_f64 v[48:49], v[24:25], v[48:49]
	v_add_f64 v[24:25], v[38:39], -v[76:77]
	v_add_f64 v[28:29], v[36:37], -v[54:55]
	s_mov_b32 s12, 0x372fe950
	v_add_f64 v[42:43], v[40:41], -v[44:45]
	v_fma_f64 v[74:75], s[6:7], v[62:63], v[60:61]
	v_fmac_f64_e32 v[120:121], s[10:11], v[62:63]
	v_fmac_f64_e32 v[118:119], s[16:17], v[62:63]
	;; [unrolled: 1-line block ×3, first 2 shown]
	v_add_f64 v[62:63], v[32:33], v[110:111]
	v_add_f64 v[40:41], v[24:25], v[28:29]
	v_add_f64 v[28:29], v[76:77], -v[38:39]
	v_add_f64 v[32:33], v[54:55], -v[36:37]
	s_mov_b32 s13, 0x3fd3c6ef
	v_fma_f64 v[72:73], s[14:15], v[50:51], v[96:97]
	v_fmac_f64_e32 v[74:75], s[10:11], v[80:81]
	s_mov_b32 s18, 0x9b97f4a8
	v_add_f64 v[32:33], v[28:29], v[32:33]
	v_add_f64 v[28:29], v[38:39], v[36:37]
	;; [unrolled: 1-line block ×3, first 2 shown]
	v_fmac_f64_e32 v[72:73], s[16:17], v[42:43]
	v_fmac_f64_e32 v[74:75], s[12:13], v[46:47]
	s_mov_b32 s19, 0xbfe9e377
	v_add_f64 v[38:39], v[38:39], v[76:77]
	v_fmac_f64_e32 v[72:73], s[12:13], v[88:89]
	v_mul_f64 v[82:83], v[74:75], s[18:19]
	v_add_f64 v[24:25], v[76:77], v[54:55]
	v_mul_f64 v[74:75], v[74:75], s[10:11]
	v_add_f64 v[38:39], v[38:39], v[54:55]
	v_fmac_f64_e32 v[82:83], s[16:17], v[72:73]
	v_fma_f64 v[98:99], s[6:7], v[42:43], v[94:95]
	v_fmac_f64_e32 v[94:95], s[14:15], v[42:43]
	v_fmac_f64_e32 v[96:97], s[6:7], v[50:51]
	;; [unrolled: 1-line block ×3, first 2 shown]
	v_fma_f64 v[66:67], -0.5, v[24:25], v[64:65]
	v_add_f64 v[44:45], v[106:107], -v[110:111]
	v_fmac_f64_e32 v[74:75], s[18:19], v[72:73]
	v_fma_f64 v[72:73], -0.5, v[28:29], v[64:65]
	v_add_f64 v[64:65], v[38:39], v[36:37]
	v_add_f64 v[36:37], v[90:91], v[52:53]
	v_fmac_f64_e32 v[98:99], s[16:17], v[50:51]
	v_fmac_f64_e32 v[120:121], s[12:13], v[116:117]
	s_mov_b32 s21, 0xbfd3c6ef
	s_mov_b32 s20, s12
	v_fmac_f64_e32 v[94:95], s[10:11], v[50:51]
	v_fmac_f64_e32 v[96:97], s[10:11], v[42:43]
	v_fmac_f64_e32 v[60:61], s[12:13], v[46:47]
	s_mov_b32 s23, 0x3fe9e377
	s_mov_b32 s22, s18
	v_fma_f64 v[80:81], s[14:15], v[44:45], v[66:67]
	v_add_f64 v[50:51], v[108:109], -v[112:113]
	v_fmac_f64_e32 v[66:67], s[6:7], v[44:45]
	v_add_f64 v[36:37], v[36:37], v[68:69]
	v_fmac_f64_e32 v[86:87], s[10:11], v[58:59]
	v_fmac_f64_e32 v[98:99], s[12:13], v[92:93]
	v_mul_f64 v[122:123], v[120:121], s[20:21]
	v_fmac_f64_e32 v[84:85], s[16:17], v[58:59]
	v_fmac_f64_e32 v[118:119], s[12:13], v[116:117]
	;; [unrolled: 1-line block ×3, first 2 shown]
	v_mul_f64 v[58:59], v[60:61], s[22:23]
	v_fma_f64 v[88:89], s[6:7], v[50:51], v[72:73]
	v_mul_f64 v[106:107], v[120:121], s[6:7]
	v_fmac_f64_e32 v[72:73], s[14:15], v[50:51]
	v_fmac_f64_e32 v[66:67], s[10:11], v[50:51]
	v_mul_f64 v[60:61], v[60:61], s[10:11]
	v_add_f64 v[36:37], v[36:37], v[78:79]
	v_fmac_f64_e32 v[56:57], s[12:13], v[114:115]
	v_fmac_f64_e32 v[122:123], s[14:15], v[98:99]
	v_fmac_f64_e32 v[94:95], s[12:13], v[92:93]
	v_mul_f64 v[92:93], v[118:119], s[12:13]
	v_fmac_f64_e32 v[80:81], s[16:17], v[50:51]
	v_fmac_f64_e32 v[88:89], s[16:17], v[44:45]
	;; [unrolled: 1-line block ×4, first 2 shown]
	v_mul_f64 v[98:99], v[118:119], s[6:7]
	v_fmac_f64_e32 v[66:67], s[12:13], v[40:41]
	v_fmac_f64_e32 v[60:61], s[22:23], v[96:97]
	v_add_f64 v[68:69], v[36:37], v[70:71]
	v_add_f64 v[26:27], v[56:57], -v[82:83]
	v_fmac_f64_e32 v[86:87], s[12:13], v[34:35]
	v_fmac_f64_e32 v[84:85], s[12:13], v[34:35]
	v_fmac_f64_e32 v[92:93], s[14:15], v[94:95]
	v_fmac_f64_e32 v[102:103], s[12:13], v[114:115]
	v_fmac_f64_e32 v[58:59], s[16:17], v[96:97]
	v_add_f64 v[46:47], v[62:63], -v[48:49]
	v_fmac_f64_e32 v[80:81], s[12:13], v[40:41]
	v_fmac_f64_e32 v[88:89], s[12:13], v[32:33]
	;; [unrolled: 1-line block ×4, first 2 shown]
	v_add_f64 v[40:41], v[66:67], -v[60:61]
	v_add_f64 v[38:39], v[56:57], v[82:83]
	v_add_f64 v[62:63], v[62:63], v[48:49]
	;; [unrolled: 1-line block ×4, first 2 shown]
	v_add_f64 v[30:31], v[86:87], -v[122:123]
	v_add_f64 v[34:35], v[84:85], -v[92:93]
	;; [unrolled: 1-line block ×7, first 2 shown]
	v_add_f64 v[50:51], v[86:87], v[122:123]
	v_add_f64 v[54:55], v[84:85], v[92:93]
	;; [unrolled: 1-line block ×6, first 2 shown]
	ds_write_b128 v154, v[60:63]
	ds_write_b128 v104, v[56:59] offset:96
	ds_write_b128 v104, v[52:55] offset:192
	;; [unrolled: 1-line block ×9, first 2 shown]
.LBB0_9:
	s_or_b64 exec, exec, s[4:5]
	s_waitcnt lgkmcnt(0)
	; wave barrier
	s_waitcnt lgkmcnt(0)
	ds_read_b128 v[24:27], v154
	v_mad_u64_u32 v[38:39], s[4:5], s2, v100, 0
	v_mov_b32_e32 v28, v39
	v_mad_u64_u32 v[28:29], s[2:3], s3, v100, v[28:29]
	v_mov_b32_e32 v39, v28
	ds_read_b128 v[28:31], v154 offset:160
	s_waitcnt lgkmcnt(1)
	v_mul_f64 v[32:33], v[22:23], v[26:27]
	s_mov_b32 s2, 0x11111111
	v_mul_f64 v[22:23], v[22:23], v[24:25]
	v_fmac_f64_e32 v[32:33], v[20:21], v[24:25]
	s_mov_b32 s3, 0x3f911111
	v_fma_f64 v[20:21], v[20:21], v[26:27], -v[22:23]
	v_mul_f64 v[34:35], v[20:21], s[2:3]
	v_mad_u64_u32 v[20:21], s[4:5], s0, v101, 0
	v_mov_b32_e32 v22, v21
	v_mov_b32_e32 v36, s8
	;; [unrolled: 1-line block ×3, first 2 shown]
	v_mad_u64_u32 v[22:23], s[4:5], s1, v101, v[22:23]
	v_mov_b32_e32 v21, v22
	v_lshl_add_u64 v[22:23], v[38:39], 4, v[36:37]
	v_lshl_add_u64 v[24:25], v[20:21], 4, v[22:23]
	s_waitcnt lgkmcnt(0)
	v_mul_f64 v[20:21], v[18:19], v[30:31]
	v_mul_f64 v[18:19], v[18:19], v[28:29]
	v_fmac_f64_e32 v[20:21], v[16:17], v[28:29]
	v_fma_f64 v[16:17], v[16:17], v[30:31], -v[18:19]
	v_mul_f64 v[22:23], v[16:17], s[2:3]
	ds_read_b128 v[16:19], v154 offset:320
	v_mul_f64 v[32:33], v[32:33], s[2:3]
	v_mov_b32_e32 v30, 0xa0
	global_store_dwordx4 v[24:25], v[32:35], off
	v_mad_u64_u32 v[28:29], s[4:5], s0, v30, v[24:25]
	s_mul_i32 s6, s1, 0xa0
	s_waitcnt lgkmcnt(0)
	v_mul_f64 v[24:25], v[2:3], v[18:19]
	v_mul_f64 v[2:3], v[2:3], v[16:17]
	;; [unrolled: 1-line block ×3, first 2 shown]
	v_add_u32_e32 v29, s6, v29
	v_fmac_f64_e32 v[24:25], v[0:1], v[16:17]
	v_fma_f64 v[0:1], v[0:1], v[18:19], -v[2:3]
	global_store_dwordx4 v[28:29], v[20:23], off
	ds_read_b128 v[20:23], v154 offset:640
	v_mul_f64 v[26:27], v[0:1], s[2:3]
	ds_read_b128 v[0:3], v104 offset:480
	v_mad_u64_u32 v[28:29], s[4:5], s0, v30, v[28:29]
	v_mul_f64 v[24:25], v[24:25], s[2:3]
	v_add_u32_e32 v29, s6, v29
	global_store_dwordx4 v[28:29], v[24:27], off
	ds_read_b128 v[16:19], v154 offset:800
	s_waitcnt lgkmcnt(1)
	v_mul_f64 v[24:25], v[6:7], v[2:3]
	v_fmac_f64_e32 v[24:25], v[4:5], v[0:1]
	v_mul_f64 v[0:1], v[6:7], v[0:1]
	v_fma_f64 v[0:1], v[4:5], v[2:3], -v[0:1]
	v_mad_u64_u32 v[4:5], s[4:5], s0, v30, v[28:29]
	v_mul_f64 v[24:25], v[24:25], s[2:3]
	v_mul_f64 v[26:27], v[0:1], s[2:3]
	v_add_u32_e32 v5, s6, v5
	v_mul_f64 v[0:1], v[10:11], v[22:23]
	v_mul_f64 v[2:3], v[10:11], v[20:21]
	global_store_dwordx4 v[4:5], v[24:27], off
	v_fmac_f64_e32 v[0:1], v[8:9], v[20:21]
	v_fma_f64 v[2:3], v[8:9], v[22:23], -v[2:3]
	v_mad_u64_u32 v[4:5], s[4:5], s0, v30, v[4:5]
	v_mul_f64 v[0:1], v[0:1], s[2:3]
	v_mul_f64 v[2:3], v[2:3], s[2:3]
	v_add_u32_e32 v5, s6, v5
	global_store_dwordx4 v[4:5], v[0:3], off
	v_mad_u64_u32 v[4:5], s[0:1], s0, v30, v[4:5]
	s_waitcnt lgkmcnt(0)
	v_mul_f64 v[0:1], v[14:15], v[18:19]
	v_mul_f64 v[2:3], v[14:15], v[16:17]
	v_fmac_f64_e32 v[0:1], v[12:13], v[16:17]
	v_fma_f64 v[2:3], v[12:13], v[18:19], -v[2:3]
	v_mul_f64 v[0:1], v[0:1], s[2:3]
	v_mul_f64 v[2:3], v[2:3], s[2:3]
	v_add_u32_e32 v5, s6, v5
	global_store_dwordx4 v[4:5], v[0:3], off
.LBB0_10:
	s_endpgm
	.section	.rodata,"a",@progbits
	.p2align	6, 0x0
	.amdhsa_kernel bluestein_single_fwd_len60_dim1_dp_op_CI_CI
		.amdhsa_group_segment_fixed_size 5760
		.amdhsa_private_segment_fixed_size 0
		.amdhsa_kernarg_size 104
		.amdhsa_user_sgpr_count 2
		.amdhsa_user_sgpr_dispatch_ptr 0
		.amdhsa_user_sgpr_queue_ptr 0
		.amdhsa_user_sgpr_kernarg_segment_ptr 1
		.amdhsa_user_sgpr_dispatch_id 0
		.amdhsa_user_sgpr_kernarg_preload_length 0
		.amdhsa_user_sgpr_kernarg_preload_offset 0
		.amdhsa_user_sgpr_private_segment_size 0
		.amdhsa_uses_dynamic_stack 0
		.amdhsa_enable_private_segment 0
		.amdhsa_system_sgpr_workgroup_id_x 1
		.amdhsa_system_sgpr_workgroup_id_y 0
		.amdhsa_system_sgpr_workgroup_id_z 0
		.amdhsa_system_sgpr_workgroup_info 0
		.amdhsa_system_vgpr_workitem_id 0
		.amdhsa_next_free_vgpr 157
		.amdhsa_next_free_sgpr 24
		.amdhsa_accum_offset 160
		.amdhsa_reserve_vcc 1
		.amdhsa_float_round_mode_32 0
		.amdhsa_float_round_mode_16_64 0
		.amdhsa_float_denorm_mode_32 3
		.amdhsa_float_denorm_mode_16_64 3
		.amdhsa_dx10_clamp 1
		.amdhsa_ieee_mode 1
		.amdhsa_fp16_overflow 0
		.amdhsa_tg_split 0
		.amdhsa_exception_fp_ieee_invalid_op 0
		.amdhsa_exception_fp_denorm_src 0
		.amdhsa_exception_fp_ieee_div_zero 0
		.amdhsa_exception_fp_ieee_overflow 0
		.amdhsa_exception_fp_ieee_underflow 0
		.amdhsa_exception_fp_ieee_inexact 0
		.amdhsa_exception_int_div_zero 0
	.end_amdhsa_kernel
	.text
.Lfunc_end0:
	.size	bluestein_single_fwd_len60_dim1_dp_op_CI_CI, .Lfunc_end0-bluestein_single_fwd_len60_dim1_dp_op_CI_CI
                                        ; -- End function
	.section	.AMDGPU.csdata,"",@progbits
; Kernel info:
; codeLenInByte = 5800
; NumSgprs: 30
; NumVgprs: 157
; NumAgprs: 0
; TotalNumVgprs: 157
; ScratchSize: 0
; MemoryBound: 0
; FloatMode: 240
; IeeeMode: 1
; LDSByteSize: 5760 bytes/workgroup (compile time only)
; SGPRBlocks: 3
; VGPRBlocks: 19
; NumSGPRsForWavesPerEU: 30
; NumVGPRsForWavesPerEU: 157
; AccumOffset: 160
; Occupancy: 3
; WaveLimiterHint : 1
; COMPUTE_PGM_RSRC2:SCRATCH_EN: 0
; COMPUTE_PGM_RSRC2:USER_SGPR: 2
; COMPUTE_PGM_RSRC2:TRAP_HANDLER: 0
; COMPUTE_PGM_RSRC2:TGID_X_EN: 1
; COMPUTE_PGM_RSRC2:TGID_Y_EN: 0
; COMPUTE_PGM_RSRC2:TGID_Z_EN: 0
; COMPUTE_PGM_RSRC2:TIDIG_COMP_CNT: 0
; COMPUTE_PGM_RSRC3_GFX90A:ACCUM_OFFSET: 39
; COMPUTE_PGM_RSRC3_GFX90A:TG_SPLIT: 0
	.text
	.p2alignl 6, 3212836864
	.fill 256, 4, 3212836864
	.type	__hip_cuid_215f38976e1be021,@object ; @__hip_cuid_215f38976e1be021
	.section	.bss,"aw",@nobits
	.globl	__hip_cuid_215f38976e1be021
__hip_cuid_215f38976e1be021:
	.byte	0                               ; 0x0
	.size	__hip_cuid_215f38976e1be021, 1

	.ident	"AMD clang version 19.0.0git (https://github.com/RadeonOpenCompute/llvm-project roc-6.4.0 25133 c7fe45cf4b819c5991fe208aaa96edf142730f1d)"
	.section	".note.GNU-stack","",@progbits
	.addrsig
	.addrsig_sym __hip_cuid_215f38976e1be021
	.amdgpu_metadata
---
amdhsa.kernels:
  - .agpr_count:     0
    .args:
      - .actual_access:  read_only
        .address_space:  global
        .offset:         0
        .size:           8
        .value_kind:     global_buffer
      - .actual_access:  read_only
        .address_space:  global
        .offset:         8
        .size:           8
        .value_kind:     global_buffer
      - .actual_access:  read_only
        .address_space:  global
        .offset:         16
        .size:           8
        .value_kind:     global_buffer
      - .actual_access:  read_only
        .address_space:  global
        .offset:         24
        .size:           8
        .value_kind:     global_buffer
      - .actual_access:  read_only
        .address_space:  global
        .offset:         32
        .size:           8
        .value_kind:     global_buffer
      - .offset:         40
        .size:           8
        .value_kind:     by_value
      - .address_space:  global
        .offset:         48
        .size:           8
        .value_kind:     global_buffer
      - .address_space:  global
        .offset:         56
        .size:           8
        .value_kind:     global_buffer
      - .address_space:  global
        .offset:         64
        .size:           8
        .value_kind:     global_buffer
      - .address_space:  global
        .offset:         72
        .size:           8
        .value_kind:     global_buffer
      - .offset:         80
        .size:           4
        .value_kind:     by_value
      - .address_space:  global
        .offset:         88
        .size:           8
        .value_kind:     global_buffer
      - .address_space:  global
        .offset:         96
        .size:           8
        .value_kind:     global_buffer
    .group_segment_fixed_size: 5760
    .kernarg_segment_align: 8
    .kernarg_segment_size: 104
    .language:       OpenCL C
    .language_version:
      - 2
      - 0
    .max_flat_workgroup_size: 60
    .name:           bluestein_single_fwd_len60_dim1_dp_op_CI_CI
    .private_segment_fixed_size: 0
    .sgpr_count:     30
    .sgpr_spill_count: 0
    .symbol:         bluestein_single_fwd_len60_dim1_dp_op_CI_CI.kd
    .uniform_work_group_size: 1
    .uses_dynamic_stack: false
    .vgpr_count:     157
    .vgpr_spill_count: 0
    .wavefront_size: 64
amdhsa.target:   amdgcn-amd-amdhsa--gfx950
amdhsa.version:
  - 1
  - 2
...

	.end_amdgpu_metadata
